;; amdgpu-corpus repo=ROCm/rocFFT kind=compiled arch=gfx90a opt=O3
	.text
	.amdgcn_target "amdgcn-amd-amdhsa--gfx90a"
	.amdhsa_code_object_version 6
	.protected	fft_rtc_fwd_len1056_factors_2_2_2_2_11_6_wgs_176_tpt_176_halfLds_dp_ip_CI_unitstride_sbrr_C2R_dirReg ; -- Begin function fft_rtc_fwd_len1056_factors_2_2_2_2_11_6_wgs_176_tpt_176_halfLds_dp_ip_CI_unitstride_sbrr_C2R_dirReg
	.globl	fft_rtc_fwd_len1056_factors_2_2_2_2_11_6_wgs_176_tpt_176_halfLds_dp_ip_CI_unitstride_sbrr_C2R_dirReg
	.p2align	8
	.type	fft_rtc_fwd_len1056_factors_2_2_2_2_11_6_wgs_176_tpt_176_halfLds_dp_ip_CI_unitstride_sbrr_C2R_dirReg,@function
fft_rtc_fwd_len1056_factors_2_2_2_2_11_6_wgs_176_tpt_176_halfLds_dp_ip_CI_unitstride_sbrr_C2R_dirReg: ; @fft_rtc_fwd_len1056_factors_2_2_2_2_11_6_wgs_176_tpt_176_halfLds_dp_ip_CI_unitstride_sbrr_C2R_dirReg
; %bb.0:
	s_load_dwordx2 s[2:3], s[4:5], 0x50
	s_load_dwordx4 s[8:11], s[4:5], 0x0
	s_load_dwordx2 s[12:13], s[4:5], 0x18
	v_mul_u32_u24_e32 v1, 0x175, v0
	v_mov_b32_e32 v4, 0
	v_add_u32_sdwa v6, s6, v1 dst_sel:DWORD dst_unused:UNUSED_PAD src0_sel:DWORD src1_sel:WORD_1
	s_waitcnt lgkmcnt(0)
	v_cmp_lt_u64_e64 s[0:1], s[10:11], 2
	v_mov_b32_e32 v7, v4
	s_and_b64 vcc, exec, s[0:1]
	v_pk_mov_b32 v[2:3], 0, 0
	s_cbranch_vccnz .LBB0_8
; %bb.1:
	s_load_dwordx2 s[0:1], s[4:5], 0x10
	s_add_u32 s6, s12, 8
	s_addc_u32 s7, s13, 0
	s_mov_b64 s[14:15], 1
	v_pk_mov_b32 v[2:3], 0, 0
	s_waitcnt lgkmcnt(0)
	s_add_u32 s16, s0, 8
	s_addc_u32 s17, s1, 0
.LBB0_2:                                ; =>This Inner Loop Header: Depth=1
	s_load_dwordx2 s[18:19], s[16:17], 0x0
                                        ; implicit-def: $vgpr8_vgpr9
	s_waitcnt lgkmcnt(0)
	v_or_b32_e32 v5, s19, v7
	v_cmp_ne_u64_e32 vcc, 0, v[4:5]
	s_and_saveexec_b64 s[0:1], vcc
	s_xor_b64 s[20:21], exec, s[0:1]
	s_cbranch_execz .LBB0_4
; %bb.3:                                ;   in Loop: Header=BB0_2 Depth=1
	v_cvt_f32_u32_e32 v1, s18
	v_cvt_f32_u32_e32 v5, s19
	s_sub_u32 s0, 0, s18
	s_subb_u32 s1, 0, s19
	v_mac_f32_e32 v1, 0x4f800000, v5
	v_rcp_f32_e32 v1, v1
	v_mul_f32_e32 v1, 0x5f7ffffc, v1
	v_mul_f32_e32 v5, 0x2f800000, v1
	v_trunc_f32_e32 v5, v5
	v_mac_f32_e32 v1, 0xcf800000, v5
	v_cvt_u32_f32_e32 v5, v5
	v_cvt_u32_f32_e32 v1, v1
	v_mul_lo_u32 v8, s0, v5
	v_mul_hi_u32 v10, s0, v1
	v_mul_lo_u32 v9, s1, v1
	v_add_u32_e32 v8, v10, v8
	v_mul_lo_u32 v11, s0, v1
	v_add_u32_e32 v8, v8, v9
	v_mul_hi_u32 v10, v1, v11
	v_mul_lo_u32 v12, v1, v8
	v_mul_hi_u32 v9, v1, v8
	v_add_co_u32_e32 v10, vcc, v10, v12
	v_addc_co_u32_e32 v9, vcc, 0, v9, vcc
	v_mul_hi_u32 v13, v5, v11
	v_mul_lo_u32 v11, v5, v11
	v_add_co_u32_e32 v10, vcc, v10, v11
	v_mul_hi_u32 v12, v5, v8
	v_addc_co_u32_e32 v9, vcc, v9, v13, vcc
	v_addc_co_u32_e32 v10, vcc, 0, v12, vcc
	v_mul_lo_u32 v8, v5, v8
	v_add_co_u32_e32 v8, vcc, v9, v8
	v_addc_co_u32_e32 v9, vcc, 0, v10, vcc
	v_add_co_u32_e32 v1, vcc, v1, v8
	v_addc_co_u32_e32 v5, vcc, v5, v9, vcc
	v_mul_lo_u32 v8, s0, v5
	v_mul_hi_u32 v9, s0, v1
	v_add_u32_e32 v8, v9, v8
	v_mul_lo_u32 v9, s1, v1
	v_add_u32_e32 v8, v8, v9
	v_mul_lo_u32 v10, s0, v1
	v_mul_hi_u32 v11, v5, v10
	v_mul_lo_u32 v12, v5, v10
	v_mul_lo_u32 v14, v1, v8
	v_mul_hi_u32 v10, v1, v10
	v_mul_hi_u32 v13, v1, v8
	v_add_co_u32_e32 v10, vcc, v10, v14
	v_addc_co_u32_e32 v13, vcc, 0, v13, vcc
	v_add_co_u32_e32 v10, vcc, v10, v12
	v_mul_hi_u32 v9, v5, v8
	v_addc_co_u32_e32 v10, vcc, v13, v11, vcc
	v_addc_co_u32_e32 v9, vcc, 0, v9, vcc
	v_mul_lo_u32 v8, v5, v8
	v_add_co_u32_e32 v8, vcc, v10, v8
	v_addc_co_u32_e32 v9, vcc, 0, v9, vcc
	v_add_co_u32_e32 v1, vcc, v1, v8
	v_addc_co_u32_e32 v5, vcc, v5, v9, vcc
	v_mad_u64_u32 v[8:9], s[0:1], v6, v5, 0
	v_mul_hi_u32 v10, v6, v1
	v_add_co_u32_e32 v12, vcc, v10, v8
	v_addc_co_u32_e32 v13, vcc, 0, v9, vcc
	v_mad_u64_u32 v[10:11], s[0:1], v7, v1, 0
	v_add_co_u32_e32 v1, vcc, v12, v10
	v_mad_u64_u32 v[8:9], s[0:1], v7, v5, 0
	v_addc_co_u32_e32 v1, vcc, v13, v11, vcc
	v_addc_co_u32_e32 v5, vcc, 0, v9, vcc
	v_add_co_u32_e32 v1, vcc, v1, v8
	v_addc_co_u32_e32 v5, vcc, 0, v5, vcc
	v_mul_lo_u32 v10, s19, v1
	v_mul_lo_u32 v11, s18, v5
	v_mad_u64_u32 v[8:9], s[0:1], s18, v1, 0
	v_add3_u32 v9, v9, v11, v10
	v_sub_u32_e32 v10, v7, v9
	v_mov_b32_e32 v11, s19
	v_sub_co_u32_e32 v8, vcc, v6, v8
	v_subb_co_u32_e64 v10, s[0:1], v10, v11, vcc
	v_subrev_co_u32_e64 v11, s[0:1], s18, v8
	v_subbrev_co_u32_e64 v10, s[0:1], 0, v10, s[0:1]
	v_cmp_le_u32_e64 s[0:1], s19, v10
	v_cndmask_b32_e64 v12, 0, -1, s[0:1]
	v_cmp_le_u32_e64 s[0:1], s18, v11
	v_cndmask_b32_e64 v11, 0, -1, s[0:1]
	v_cmp_eq_u32_e64 s[0:1], s19, v10
	v_cndmask_b32_e64 v10, v12, v11, s[0:1]
	v_add_co_u32_e64 v11, s[0:1], 2, v1
	v_addc_co_u32_e64 v12, s[0:1], 0, v5, s[0:1]
	v_add_co_u32_e64 v13, s[0:1], 1, v1
	v_addc_co_u32_e64 v14, s[0:1], 0, v5, s[0:1]
	v_subb_co_u32_e32 v9, vcc, v7, v9, vcc
	v_cmp_ne_u32_e64 s[0:1], 0, v10
	v_cmp_le_u32_e32 vcc, s19, v9
	v_cndmask_b32_e64 v10, v14, v12, s[0:1]
	v_cndmask_b32_e64 v12, 0, -1, vcc
	v_cmp_le_u32_e32 vcc, s18, v8
	v_cndmask_b32_e64 v8, 0, -1, vcc
	v_cmp_eq_u32_e32 vcc, s19, v9
	v_cndmask_b32_e32 v8, v12, v8, vcc
	v_cmp_ne_u32_e32 vcc, 0, v8
	v_cndmask_b32_e32 v9, v5, v10, vcc
	v_cndmask_b32_e64 v5, v13, v11, s[0:1]
	v_cndmask_b32_e32 v8, v1, v5, vcc
.LBB0_4:                                ;   in Loop: Header=BB0_2 Depth=1
	s_andn2_saveexec_b64 s[0:1], s[20:21]
	s_cbranch_execz .LBB0_6
; %bb.5:                                ;   in Loop: Header=BB0_2 Depth=1
	v_cvt_f32_u32_e32 v1, s18
	s_sub_i32 s20, 0, s18
	v_rcp_iflag_f32_e32 v1, v1
	v_mul_f32_e32 v1, 0x4f7ffffe, v1
	v_cvt_u32_f32_e32 v1, v1
	v_mul_lo_u32 v5, s20, v1
	v_mul_hi_u32 v5, v1, v5
	v_add_u32_e32 v1, v1, v5
	v_mul_hi_u32 v1, v6, v1
	v_mul_lo_u32 v5, v1, s18
	v_sub_u32_e32 v5, v6, v5
	v_add_u32_e32 v8, 1, v1
	v_subrev_u32_e32 v9, s18, v5
	v_cmp_le_u32_e32 vcc, s18, v5
	v_cndmask_b32_e32 v5, v5, v9, vcc
	v_cndmask_b32_e32 v1, v1, v8, vcc
	v_add_u32_e32 v8, 1, v1
	v_cmp_le_u32_e32 vcc, s18, v5
	v_cndmask_b32_e32 v8, v1, v8, vcc
	v_mov_b32_e32 v9, v4
.LBB0_6:                                ;   in Loop: Header=BB0_2 Depth=1
	s_or_b64 exec, exec, s[0:1]
	v_mad_u64_u32 v[10:11], s[0:1], v8, s18, 0
	s_load_dwordx2 s[0:1], s[6:7], 0x0
	v_mul_lo_u32 v1, v9, s18
	v_mul_lo_u32 v5, v8, s19
	v_add3_u32 v1, v11, v5, v1
	v_sub_co_u32_e32 v5, vcc, v6, v10
	s_add_u32 s14, s14, 1
	v_subb_co_u32_e32 v1, vcc, v7, v1, vcc
	s_addc_u32 s15, s15, 0
	s_waitcnt lgkmcnt(0)
	v_mul_lo_u32 v1, s0, v1
	v_mul_lo_u32 v6, s1, v5
	v_mad_u64_u32 v[2:3], s[0:1], s0, v5, v[2:3]
	s_add_u32 s6, s6, 8
	v_add3_u32 v3, v6, v3, v1
	s_addc_u32 s7, s7, 0
	v_pk_mov_b32 v[6:7], s[10:11], s[10:11] op_sel:[0,1]
	s_add_u32 s16, s16, 8
	v_cmp_ge_u64_e32 vcc, s[14:15], v[6:7]
	s_addc_u32 s17, s17, 0
	s_cbranch_vccnz .LBB0_9
; %bb.7:                                ;   in Loop: Header=BB0_2 Depth=1
	v_pk_mov_b32 v[6:7], v[8:9], v[8:9] op_sel:[0,1]
	s_branch .LBB0_2
.LBB0_8:
	v_pk_mov_b32 v[8:9], v[6:7], v[6:7] op_sel:[0,1]
.LBB0_9:
	s_lshl_b64 s[0:1], s[10:11], 3
	s_add_u32 s0, s12, s0
	s_addc_u32 s1, s13, s1
	s_load_dwordx2 s[6:7], s[0:1], 0x0
	s_load_dwordx2 s[10:11], s[4:5], 0x20
	s_mov_b32 s4, 0x1745d18
	s_waitcnt lgkmcnt(0)
	v_mul_lo_u32 v1, s6, v9
	v_mul_lo_u32 v4, s7, v8
	v_mad_u64_u32 v[2:3], s[0:1], s6, v8, v[2:3]
	v_add3_u32 v3, v4, v3, v1
	v_mul_hi_u32 v1, v0, s4
	v_mul_u32_u24_e32 v1, 0xb0, v1
	v_cmp_gt_u64_e64 s[0:1], s[10:11], v[8:9]
	v_sub_u32_e32 v52, v0, v1
	v_lshlrev_b64 v[54:55], 4, v[2:3]
	s_and_saveexec_b64 s[4:5], s[0:1]
	s_cbranch_execz .LBB0_13
; %bb.10:
	v_mov_b32_e32 v53, 0
	v_mov_b32_e32 v0, s3
	v_add_co_u32_e32 v1, vcc, s2, v54
	v_addc_co_u32_e32 v0, vcc, v0, v55, vcc
	v_lshlrev_b64 v[2:3], 4, v[52:53]
	v_add_co_u32_e32 v18, vcc, v1, v2
	v_addc_co_u32_e32 v19, vcc, v0, v3, vcc
	v_add_co_u32_e32 v20, vcc, 0x1000, v18
	v_addc_co_u32_e32 v21, vcc, 0, v19, vcc
	;; [unrolled: 2-line block ×3, first 2 shown]
	v_add_co_u32_e32 v28, vcc, 0x3000, v18
	global_load_dwordx4 v[2:5], v[18:19], off
	global_load_dwordx4 v[6:9], v[18:19], off offset:2816
	global_load_dwordx4 v[10:13], v[20:21], off offset:1536
	;; [unrolled: 1-line block ×3, first 2 shown]
	v_addc_co_u32_e32 v29, vcc, 0, v19, vcc
	global_load_dwordx4 v[18:21], v[26:27], off offset:3072
	global_load_dwordx4 v[22:25], v[28:29], off offset:1792
	s_movk_i32 s6, 0xaf
	v_lshl_add_u32 v26, v52, 4, 0
	v_cmp_eq_u32_e32 vcc, s6, v52
	s_waitcnt vmcnt(5)
	ds_write_b128 v26, v[2:5]
	s_waitcnt vmcnt(4)
	ds_write_b128 v26, v[6:9] offset:2816
	s_waitcnt vmcnt(3)
	ds_write_b128 v26, v[10:13] offset:5632
	;; [unrolled: 2-line block ×5, first 2 shown]
	s_and_saveexec_b64 s[6:7], vcc
	s_cbranch_execz .LBB0_12
; %bb.11:
	v_add_co_u32_e32 v2, vcc, 0x4000, v1
	v_addc_co_u32_e32 v3, vcc, 0, v0, vcc
	global_load_dwordx4 v[0:3], v[2:3], off offset:512
	v_mov_b32_e32 v52, 0xaf
	s_waitcnt vmcnt(0)
	ds_write_b128 v53, v[0:3] offset:16896
.LBB0_12:
	s_or_b64 exec, exec, s[6:7]
.LBB0_13:
	s_or_b64 exec, exec, s[4:5]
	v_lshlrev_b32_e32 v0, 4, v52
	v_add_u32_e32 v108, 0, v0
	s_waitcnt lgkmcnt(0)
	s_barrier
	v_sub_u32_e32 v6, 0, v0
	ds_read_b64 v[2:3], v108
	ds_read_b64 v[4:5], v6 offset:16896
	s_add_u32 s6, s8, 0x41e0
	s_addc_u32 s7, s9, 0
	v_cmp_ne_u32_e32 vcc, 0, v52
	s_waitcnt lgkmcnt(0)
	v_add_f64 v[0:1], v[2:3], v[4:5]
	v_add_f64 v[2:3], v[2:3], -v[4:5]
                                        ; implicit-def: $vgpr4_vgpr5
	s_and_saveexec_b64 s[4:5], vcc
	s_xor_b64 s[4:5], exec, s[4:5]
	s_cbranch_execz .LBB0_15
; %bb.14:
	v_mov_b32_e32 v53, 0
	v_lshlrev_b64 v[4:5], 4, v[52:53]
	v_mov_b32_e32 v7, s7
	v_add_co_u32_e32 v4, vcc, s6, v4
	v_addc_co_u32_e32 v5, vcc, v7, v5, vcc
	global_load_dwordx4 v[8:11], v[4:5], off
	ds_read_b64 v[4:5], v6 offset:16904
	ds_read_b64 v[12:13], v108 offset:8
	s_waitcnt lgkmcnt(0)
	v_add_f64 v[18:19], v[4:5], v[12:13]
	v_add_f64 v[4:5], v[12:13], -v[4:5]
	s_waitcnt vmcnt(0)
	v_fma_f64 v[20:21], v[2:3], v[10:11], v[0:1]
	v_fma_f64 v[12:13], v[18:19], v[10:11], v[4:5]
	v_fma_f64 v[14:15], -v[2:3], v[10:11], v[0:1]
	v_fma_f64 v[16:17], v[18:19], v[10:11], -v[4:5]
	v_fma_f64 v[10:11], -v[18:19], v[8:9], v[20:21]
	v_fmac_f64_e32 v[12:13], v[2:3], v[8:9]
	v_fmac_f64_e32 v[14:15], v[18:19], v[8:9]
	;; [unrolled: 1-line block ×3, first 2 shown]
	ds_write_b128 v108, v[10:13]
	ds_write_b128 v6, v[14:17] offset:16896
	v_pk_mov_b32 v[4:5], v[52:53], v[52:53] op_sel:[0,1]
                                        ; implicit-def: $vgpr0_vgpr1
.LBB0_15:
	s_andn2_saveexec_b64 s[4:5], s[4:5]
	s_cbranch_execz .LBB0_17
; %bb.16:
	ds_write_b128 v108, v[0:3]
	v_mov_b32_e32 v4, 0
	ds_read_b128 v[0:3], v4 offset:8448
	s_waitcnt lgkmcnt(0)
	v_add_f64 v[0:1], v[0:1], v[0:1]
	v_mul_f64 v[2:3], v[2:3], -2.0
	ds_write_b128 v4, v[0:3] offset:8448
	v_pk_mov_b32 v[4:5], 0, 0
.LBB0_17:
	s_or_b64 exec, exec, s[4:5]
	v_lshlrev_b64 v[0:1], 4, v[4:5]
	v_mov_b32_e32 v2, s7
	v_add_co_u32_e32 v0, vcc, s6, v0
	v_addc_co_u32_e32 v1, vcc, v2, v1, vcc
	global_load_dwordx4 v[8:11], v[0:1], off offset:2816
	s_movk_i32 s4, 0x1000
	v_add_co_u32_e32 v0, vcc, s4, v0
	v_addc_co_u32_e32 v1, vcc, 0, v1, vcc
	global_load_dwordx4 v[0:3], v[0:1], off offset:1536
	ds_read_b128 v[12:15], v108 offset:2816
	ds_read_b128 v[16:19], v6 offset:14080
	v_and_b32_e32 v27, 1, v52
	v_add_u32_e32 v24, 0xb0, v52
	v_add_u32_e32 v25, 0x160, v52
	v_lshl_add_u32 v26, v52, 4, v108
	s_waitcnt lgkmcnt(0)
	v_add_f64 v[4:5], v[12:13], v[16:17]
	v_add_f64 v[20:21], v[18:19], v[14:15]
	v_add_f64 v[22:23], v[12:13], -v[16:17]
	v_add_f64 v[16:17], v[14:15], -v[18:19]
	v_lshlrev_b32_e32 v30, 4, v27
	v_lshl_add_u32 v28, v24, 5, 0
	v_lshl_add_u32 v29, v25, 5, 0
	s_movk_i32 s4, 0x1fc
	s_movk_i32 s5, 0x3fc
	;; [unrolled: 1-line block ×3, first 2 shown]
	v_lshlrev_b32_e32 v42, 1, v24
	v_lshlrev_b32_e32 v43, 1, v25
	s_movk_i32 s7, 0x60
	v_cmp_gt_u32_e32 vcc, s7, v52
	s_waitcnt vmcnt(1)
	v_fma_f64 v[18:19], v[22:23], v[10:11], v[4:5]
	v_fma_f64 v[12:13], v[20:21], v[10:11], v[16:17]
	v_fma_f64 v[14:15], -v[22:23], v[10:11], v[4:5]
	v_fma_f64 v[16:17], v[20:21], v[10:11], -v[16:17]
	v_fma_f64 v[10:11], -v[20:21], v[8:9], v[18:19]
	v_fmac_f64_e32 v[12:13], v[22:23], v[8:9]
	v_fmac_f64_e32 v[14:15], v[20:21], v[8:9]
	;; [unrolled: 1-line block ×3, first 2 shown]
	ds_write_b128 v108, v[10:13] offset:2816
	ds_write_b128 v6, v[14:17] offset:14080
	ds_read_b128 v[8:11], v108 offset:5632
	ds_read_b128 v[12:15], v6 offset:11264
	s_waitcnt lgkmcnt(0)
	v_add_f64 v[16:17], v[8:9], v[12:13]
	v_add_f64 v[18:19], v[14:15], v[10:11]
	v_add_f64 v[12:13], v[8:9], -v[12:13]
	v_add_f64 v[10:11], v[10:11], -v[14:15]
	s_waitcnt vmcnt(0)
	v_fma_f64 v[14:15], v[12:13], v[2:3], v[16:17]
	v_fma_f64 v[4:5], v[18:19], v[2:3], v[10:11]
	v_fma_f64 v[8:9], -v[12:13], v[2:3], v[16:17]
	v_fma_f64 v[10:11], v[18:19], v[2:3], -v[10:11]
	v_fma_f64 v[2:3], -v[18:19], v[0:1], v[14:15]
	v_fmac_f64_e32 v[4:5], v[12:13], v[0:1]
	v_fmac_f64_e32 v[8:9], v[18:19], v[0:1]
	;; [unrolled: 1-line block ×3, first 2 shown]
	ds_write_b128 v108, v[2:5] offset:5632
	ds_write_b128 v6, v[8:11] offset:11264
	s_waitcnt lgkmcnt(0)
	s_barrier
	s_barrier
	ds_read_b128 v[0:3], v108
	ds_read_b128 v[4:7], v108 offset:2816
	ds_read_b128 v[8:11], v108 offset:8448
	;; [unrolled: 1-line block ×5, first 2 shown]
	s_waitcnt lgkmcnt(0)
	v_add_f64 v[10:11], v[2:3], -v[10:11]
	v_add_f64 v[8:9], v[0:1], -v[8:9]
	;; [unrolled: 1-line block ×6, first 2 shown]
	v_fma_f64 v[2:3], v[2:3], 2.0, -v[10:11]
	v_fma_f64 v[4:5], v[4:5], 2.0, -v[16:17]
	s_barrier
	v_fma_f64 v[0:1], v[0:1], 2.0, -v[8:9]
	v_fma_f64 v[6:7], v[6:7], 2.0, -v[18:19]
	;; [unrolled: 1-line block ×4, first 2 shown]
	ds_write_b128 v26, v[8:11] offset:16
	ds_write_b128 v28, v[16:19] offset:16
	;; [unrolled: 1-line block ×3, first 2 shown]
	ds_write_b128 v26, v[0:3]
	ds_write_b128 v28, v[4:7]
	;; [unrolled: 1-line block ×3, first 2 shown]
	s_waitcnt lgkmcnt(0)
	s_barrier
	global_load_dwordx4 v[2:5], v30, s[8:9]
	v_lshlrev_b32_e32 v0, 1, v52
	v_and_or_b32 v6, v0, s4, v27
	v_lshl_add_u32 v45, v6, 4, 0
	v_and_or_b32 v6, v42, s5, v27
	v_and_or_b32 v7, v43, s6, v27
	v_lshl_add_u32 v46, v6, 4, 0
	v_lshl_add_u32 v47, v7, 4, 0
	ds_read_b128 v[6:9], v108
	ds_read_b128 v[10:13], v108 offset:2816
	ds_read_b128 v[14:17], v108 offset:8448
	;; [unrolled: 1-line block ×5, first 2 shown]
	v_and_b32_e32 v1, 3, v52
	v_lshlrev_b32_e32 v44, 4, v1
	s_waitcnt lgkmcnt(0)
	s_barrier
	s_movk_i32 s4, 0x1f8
	s_movk_i32 s5, 0x3f8
	;; [unrolled: 1-line block ×3, first 2 shown]
	s_waitcnt vmcnt(0)
	v_mul_f64 v[30:31], v[16:17], v[4:5]
	v_mul_f64 v[32:33], v[14:15], v[4:5]
	;; [unrolled: 1-line block ×6, first 2 shown]
	v_fma_f64 v[4:5], v[14:15], v[2:3], -v[30:31]
	v_fmac_f64_e32 v[32:33], v[16:17], v[2:3]
	v_fma_f64 v[14:15], v[22:23], v[2:3], -v[34:35]
	v_fmac_f64_e32 v[36:37], v[24:25], v[2:3]
	;; [unrolled: 2-line block ×3, first 2 shown]
	v_add_f64 v[2:3], v[6:7], -v[4:5]
	v_add_f64 v[4:5], v[8:9], -v[32:33]
	;; [unrolled: 1-line block ×6, first 2 shown]
	v_fma_f64 v[6:7], v[6:7], 2.0, -v[2:3]
	v_fma_f64 v[8:9], v[8:9], 2.0, -v[4:5]
	;; [unrolled: 1-line block ×6, first 2 shown]
	ds_write_b128 v45, v[2:5] offset:32
	ds_write_b128 v45, v[6:9]
	ds_write_b128 v46, v[10:13]
	ds_write_b128 v46, v[14:17] offset:32
	ds_write_b128 v47, v[18:21]
	ds_write_b128 v47, v[22:25] offset:32
	s_waitcnt lgkmcnt(0)
	s_barrier
	global_load_dwordx4 v[2:5], v44, s[8:9] offset:32
	v_and_or_b32 v6, v0, s4, v1
	v_lshl_add_u32 v46, v6, 4, 0
	v_and_or_b32 v6, v42, s5, v1
	v_lshl_add_u32 v47, v6, 4, 0
	ds_read_b128 v[6:9], v108
	ds_read_b128 v[10:13], v108 offset:2816
	ds_read_b128 v[14:17], v108 offset:8448
	;; [unrolled: 1-line block ×5, first 2 shown]
	v_and_b32_e32 v44, 7, v52
	v_lshlrev_b32_e32 v45, 4, v44
	v_and_or_b32 v1, v43, s6, v1
	v_lshl_add_u32 v1, v1, 4, 0
	s_waitcnt lgkmcnt(0)
	s_barrier
	s_movk_i32 s4, 0x1f0
	s_movk_i32 s5, 0x3f0
	;; [unrolled: 1-line block ×3, first 2 shown]
	v_and_or_b32 v0, v0, s4, v44
	s_waitcnt vmcnt(0)
	v_mul_f64 v[30:31], v[16:17], v[4:5]
	v_mul_f64 v[32:33], v[14:15], v[4:5]
	;; [unrolled: 1-line block ×6, first 2 shown]
	v_fma_f64 v[4:5], v[14:15], v[2:3], -v[30:31]
	v_fmac_f64_e32 v[32:33], v[16:17], v[2:3]
	v_fma_f64 v[14:15], v[22:23], v[2:3], -v[34:35]
	v_fmac_f64_e32 v[36:37], v[24:25], v[2:3]
	;; [unrolled: 2-line block ×3, first 2 shown]
	v_add_f64 v[2:3], v[6:7], -v[4:5]
	v_add_f64 v[4:5], v[8:9], -v[32:33]
	;; [unrolled: 1-line block ×6, first 2 shown]
	v_fma_f64 v[6:7], v[6:7], 2.0, -v[2:3]
	v_fma_f64 v[8:9], v[8:9], 2.0, -v[4:5]
	;; [unrolled: 1-line block ×6, first 2 shown]
	ds_write_b128 v46, v[2:5] offset:64
	ds_write_b128 v46, v[6:9]
	ds_write_b128 v47, v[10:13]
	ds_write_b128 v47, v[14:17] offset:64
	ds_write_b128 v1, v[18:21]
	ds_write_b128 v1, v[22:25] offset:64
	s_waitcnt lgkmcnt(0)
	s_barrier
	global_load_dwordx4 v[2:5], v45, s[8:9] offset:96
	ds_read_b128 v[8:11], v108
	ds_read_b128 v[16:19], v108 offset:2816
	ds_read_b128 v[12:15], v108 offset:8448
	;; [unrolled: 1-line block ×5, first 2 shown]
	v_lshl_add_u32 v40, v0, 4, 0
	v_and_or_b32 v0, v42, s5, v44
	v_and_or_b32 v1, v43, s6, v44
	v_lshl_add_u32 v41, v0, 4, 0
	v_lshl_add_u32 v42, v1, 4, 0
	s_waitcnt lgkmcnt(0)
	s_barrier
	s_waitcnt vmcnt(0)
	v_mul_f64 v[0:1], v[14:15], v[4:5]
	v_mul_f64 v[6:7], v[12:13], v[4:5]
	v_mul_f64 v[32:33], v[22:23], v[4:5]
	v_mul_f64 v[34:35], v[20:21], v[4:5]
	v_mul_f64 v[36:37], v[30:31], v[4:5]
	v_mul_f64 v[38:39], v[28:29], v[4:5]
	v_fma_f64 v[0:1], v[12:13], v[2:3], -v[0:1]
	v_fmac_f64_e32 v[6:7], v[14:15], v[2:3]
	v_fma_f64 v[12:13], v[20:21], v[2:3], -v[32:33]
	v_fmac_f64_e32 v[34:35], v[22:23], v[2:3]
	;; [unrolled: 2-line block ×3, first 2 shown]
	v_add_f64 v[4:5], v[8:9], -v[0:1]
	v_add_f64 v[6:7], v[10:11], -v[6:7]
	;; [unrolled: 1-line block ×6, first 2 shown]
	v_fma_f64 v[0:1], v[8:9], 2.0, -v[4:5]
	v_fma_f64 v[2:3], v[10:11], 2.0, -v[6:7]
	;; [unrolled: 1-line block ×6, first 2 shown]
	ds_write_b128 v40, v[4:7] offset:128
	ds_write_b128 v40, v[0:3]
	ds_write_b128 v41, v[8:11]
	ds_write_b128 v41, v[12:15] offset:128
	ds_write_b128 v42, v[16:19]
	ds_write_b128 v42, v[20:23] offset:128
	s_waitcnt lgkmcnt(0)
	s_barrier
	s_waitcnt lgkmcnt(0)
                                        ; implicit-def: $vgpr42_vgpr43
                                        ; implicit-def: $vgpr38_vgpr39
                                        ; implicit-def: $vgpr34_vgpr35
                                        ; implicit-def: $vgpr30_vgpr31
                                        ; implicit-def: $vgpr26_vgpr27
	s_and_saveexec_b64 s[4:5], vcc
	s_cbranch_execz .LBB0_19
; %bb.18:
	ds_read_b128 v[0:3], v108
	ds_read_b128 v[4:7], v108 offset:1536
	ds_read_b128 v[8:11], v108 offset:3072
	ds_read_b128 v[12:15], v108 offset:4608
	ds_read_b128 v[16:19], v108 offset:6144
	ds_read_b128 v[20:23], v108 offset:7680
	ds_read_b128 v[24:27], v108 offset:9216
	ds_read_b128 v[28:31], v108 offset:10752
	ds_read_b128 v[32:35], v108 offset:12288
	ds_read_b128 v[36:39], v108 offset:13824
	ds_read_b128 v[40:43], v108 offset:15360
.LBB0_19:
	s_or_b64 exec, exec, s[4:5]
	s_waitcnt lgkmcnt(0)
	s_barrier
	s_and_saveexec_b64 s[4:5], vcc
	s_cbranch_execz .LBB0_21
; %bb.20:
	v_and_b32_e32 v53, 15, v52
	v_mul_u32_u24_e32 v44, 10, v53
	v_lshlrev_b32_e32 v56, 4, v44
	global_load_dwordx4 v[48:51], v56, s[8:9] offset:288
	global_load_dwordx4 v[44:47], v56, s[8:9] offset:304
	;; [unrolled: 1-line block ×10, first 2 shown]
	s_mov_b32 s12, 0x9bcd5057
	s_mov_b32 s6, 0x8764f0ba
	;; [unrolled: 1-line block ×30, first 2 shown]
	s_waitcnt vmcnt(9)
	v_mul_f64 v[56:57], v[20:21], v[50:51]
	v_mul_f64 v[102:103], v[22:23], v[50:51]
	s_waitcnt vmcnt(7)
	v_mul_f64 v[58:59], v[16:17], v[72:73]
	v_mul_f64 v[106:107], v[18:19], v[72:73]
	;; [unrolled: 1-line block ×4, first 2 shown]
	s_waitcnt vmcnt(6)
	v_mul_f64 v[46:47], v[28:29], v[76:77]
	v_mul_f64 v[76:77], v[30:31], v[76:77]
	s_waitcnt vmcnt(1)
	v_mul_f64 v[72:73], v[4:5], v[96:97]
	s_waitcnt vmcnt(0)
	v_mul_f64 v[66:67], v[40:41], v[100:101]
	v_mul_f64 v[60:61], v[32:33], v[84:85]
	;; [unrolled: 1-line block ×8, first 2 shown]
	v_fmac_f64_e32 v[72:73], v[6:7], v[94:95]
	v_fmac_f64_e32 v[66:67], v[42:43], v[98:99]
	v_mul_f64 v[62:63], v[12:13], v[80:81]
	v_mul_f64 v[88:89], v[10:11], v[88:89]
	v_fmac_f64_e32 v[50:51], v[26:27], v[44:45]
	v_fmac_f64_e32 v[46:47], v[30:31], v[74:75]
	v_fma_f64 v[26:27], v[28:29], v[74:75], -v[76:77]
	v_fma_f64 v[28:29], v[32:33], v[82:83], -v[84:85]
	v_fmac_f64_e32 v[68:69], v[10:11], v[86:87]
	v_fmac_f64_e32 v[64:65], v[38:39], v[90:91]
	v_fma_f64 v[30:31], v[36:37], v[90:91], -v[92:93]
	v_fma_f64 v[36:37], v[4:5], v[94:95], -v[96:97]
	;; [unrolled: 1-line block ×3, first 2 shown]
	v_add_f64 v[94:95], v[72:73], v[66:67]
	v_mul_f64 v[80:81], v[14:15], v[80:81]
	v_fmac_f64_e32 v[62:63], v[14:15], v[78:79]
	v_fmac_f64_e32 v[60:61], v[34:35], v[82:83]
	v_fma_f64 v[34:35], v[8:9], v[86:87], -v[88:89]
	v_add_f64 v[92:93], v[68:69], v[64:65]
	v_add_f64 v[40:41], v[36:37], -v[32:33]
	v_mul_f64 v[8:9], v[94:95], s[12:13]
	v_fma_f64 v[24:25], v[24:25], v[44:45], -v[104:105]
	v_fmac_f64_e32 v[58:59], v[18:19], v[70:71]
	v_fma_f64 v[44:45], v[16:17], v[70:71], -v[106:107]
	v_fma_f64 v[70:71], v[12:13], v[78:79], -v[80:81]
	v_add_f64 v[38:39], v[34:35], -v[30:31]
	v_add_f64 v[88:89], v[62:63], v[60:61]
	v_mul_f64 v[10:11], v[92:93], s[6:7]
	v_fma_f64 v[4:5], s[16:17], v[40:41], v[8:9]
	v_add_f64 v[42:43], v[70:71], -v[28:29]
	v_add_f64 v[86:87], v[58:59], v[46:47]
	v_mul_f64 v[12:13], v[88:89], s[14:15]
	v_fma_f64 v[6:7], s[10:11], v[38:39], v[10:11]
	v_add_f64 v[4:5], v[2:3], v[4:5]
	v_add_f64 v[76:77], v[44:45], -v[26:27]
	v_mul_f64 v[14:15], v[86:87], s[18:19]
	v_fma_f64 v[16:17], s[22:23], v[42:43], v[12:13]
	v_add_f64 v[4:5], v[6:7], v[4:5]
	v_add_f64 v[90:91], v[72:73], -v[66:67]
	v_fma_f64 v[18:19], s[20:21], v[76:77], v[14:15]
	v_add_f64 v[4:5], v[16:17], v[4:5]
	v_add_f64 v[74:75], v[36:37], v[32:33]
	v_mul_f64 v[16:17], v[90:91], s[24:25]
	v_add_f64 v[100:101], v[68:69], -v[64:65]
	v_add_f64 v[4:5], v[18:19], v[4:5]
	v_fma_f64 v[6:7], s[12:13], v[74:75], v[16:17]
	v_add_f64 v[78:79], v[34:35], v[30:31]
	v_mul_f64 v[18:19], v[100:101], s[26:27]
	v_fmac_f64_e32 v[8:9], s[24:25], v[40:41]
	v_fmac_f64_e32 v[56:57], v[22:23], v[48:49]
	v_fma_f64 v[48:49], v[20:21], v[48:49], -v[102:103]
	v_add_f64 v[6:7], v[0:1], v[6:7]
	v_fma_f64 v[20:21], s[6:7], v[78:79], v[18:19]
	v_add_f64 v[98:99], v[62:63], -v[60:61]
	v_fmac_f64_e32 v[10:11], s[26:27], v[38:39]
	v_add_f64 v[8:9], v[2:3], v[8:9]
	v_add_f64 v[6:7], v[20:21], v[6:7]
	;; [unrolled: 1-line block ×3, first 2 shown]
	v_mul_f64 v[20:21], v[98:99], s[30:31]
	v_add_f64 v[8:9], v[10:11], v[8:9]
	v_fmac_f64_e32 v[12:13], s[30:31], v[42:43]
	v_fma_f64 v[22:23], s[14:15], v[80:81], v[20:21]
	v_add_f64 v[102:103], v[58:59], -v[46:47]
	v_add_f64 v[8:9], v[12:13], v[8:9]
	v_fma_f64 v[12:13], v[74:75], s[12:13], -v[16:17]
	v_add_f64 v[6:7], v[22:23], v[6:7]
	v_add_f64 v[82:83], v[44:45], v[26:27]
	v_mul_f64 v[22:23], v[102:103], s[36:37]
	v_add_f64 v[104:105], v[56:57], v[50:51]
	v_fma_f64 v[10:11], v[78:79], s[6:7], -v[18:19]
	v_add_f64 v[12:13], v[0:1], v[12:13]
	v_fma_f64 v[84:85], s[18:19], v[82:83], v[22:23]
	v_mul_f64 v[112:113], v[104:105], s[28:29]
	v_add_f64 v[96:97], v[48:49], -v[24:25]
	v_add_f64 v[106:107], v[56:57], -v[50:51]
	v_fmac_f64_e32 v[14:15], s[36:37], v[76:77]
	v_add_f64 v[10:11], v[10:11], v[12:13]
	v_fma_f64 v[12:13], v[80:81], s[14:15], -v[20:21]
	v_add_f64 v[110:111], v[84:85], v[6:7]
	v_fma_f64 v[6:7], s[38:39], v[96:97], v[112:113]
	v_add_f64 v[84:85], v[48:49], v[24:25]
	v_mul_f64 v[114:115], v[106:107], s[34:35]
	v_add_f64 v[8:9], v[14:15], v[8:9]
	v_add_f64 v[10:11], v[12:13], v[10:11]
	v_fma_f64 v[12:13], v[82:83], s[18:19], -v[22:23]
	v_fmac_f64_e32 v[112:113], s[34:35], v[96:97]
	v_add_f64 v[12:13], v[12:13], v[10:11]
	v_add_f64 v[10:11], v[112:113], v[8:9]
	v_fma_f64 v[8:9], v[84:85], s[28:29], -v[114:115]
	v_mul_f64 v[16:17], v[94:95], s[14:15]
	v_add_f64 v[8:9], v[8:9], v[12:13]
	v_fma_f64 v[12:13], s[22:23], v[40:41], v[16:17]
	v_mul_f64 v[18:19], v[92:93], s[28:29]
	v_add_f64 v[12:13], v[2:3], v[12:13]
	v_fma_f64 v[14:15], s[34:35], v[38:39], v[18:19]
	v_mul_f64 v[20:21], v[88:89], s[6:7]
	v_add_f64 v[6:7], v[6:7], v[4:5]
	v_fma_f64 v[4:5], s[28:29], v[84:85], v[114:115]
	v_add_f64 v[12:13], v[14:15], v[12:13]
	v_fma_f64 v[14:15], s[26:27], v[42:43], v[20:21]
	v_mul_f64 v[22:23], v[86:87], s[12:13]
	v_add_f64 v[4:5], v[4:5], v[110:111]
	v_add_f64 v[12:13], v[14:15], v[12:13]
	v_fma_f64 v[14:15], s[16:17], v[76:77], v[22:23]
	v_mul_f64 v[110:111], v[90:91], s[30:31]
	v_add_f64 v[12:13], v[14:15], v[12:13]
	v_fma_f64 v[14:15], s[14:15], v[74:75], v[110:111]
	v_mul_f64 v[112:113], v[100:101], s[38:39]
	v_fmac_f64_e32 v[16:17], s[30:31], v[40:41]
	v_add_f64 v[14:15], v[0:1], v[14:15]
	v_fma_f64 v[114:115], s[28:29], v[78:79], v[112:113]
	v_fmac_f64_e32 v[18:19], s[38:39], v[38:39]
	v_add_f64 v[16:17], v[2:3], v[16:17]
	v_add_f64 v[14:15], v[114:115], v[14:15]
	v_mul_f64 v[114:115], v[98:99], s[10:11]
	v_add_f64 v[16:17], v[18:19], v[16:17]
	v_fmac_f64_e32 v[20:21], s[10:11], v[42:43]
	v_fma_f64 v[116:117], s[6:7], v[80:81], v[114:115]
	v_add_f64 v[16:17], v[20:21], v[16:17]
	v_fma_f64 v[20:21], v[74:75], s[14:15], -v[110:111]
	v_add_f64 v[14:15], v[116:117], v[14:15]
	v_mul_f64 v[116:117], v[102:103], s[24:25]
	v_fma_f64 v[18:19], v[78:79], s[28:29], -v[112:113]
	v_add_f64 v[20:21], v[0:1], v[20:21]
	v_fma_f64 v[118:119], s[12:13], v[82:83], v[116:117]
	v_mul_f64 v[120:121], v[104:105], s[18:19]
	v_fmac_f64_e32 v[22:23], s[24:25], v[76:77]
	v_add_f64 v[18:19], v[18:19], v[20:21]
	v_fma_f64 v[20:21], v[80:81], s[6:7], -v[114:115]
	v_add_f64 v[118:119], v[118:119], v[14:15]
	v_fma_f64 v[14:15], s[20:21], v[96:97], v[120:121]
	v_mul_f64 v[122:123], v[106:107], s[36:37]
	v_add_f64 v[16:17], v[22:23], v[16:17]
	v_add_f64 v[18:19], v[20:21], v[18:19]
	v_fma_f64 v[20:21], v[82:83], s[12:13], -v[116:117]
	v_fmac_f64_e32 v[120:121], s[36:37], v[96:97]
	v_add_f64 v[20:21], v[20:21], v[18:19]
	v_add_f64 v[18:19], v[120:121], v[16:17]
	v_fma_f64 v[16:17], v[84:85], s[18:19], -v[122:123]
	v_mul_f64 v[110:111], v[94:95], s[28:29]
	v_add_f64 v[16:17], v[16:17], v[20:21]
	v_fma_f64 v[20:21], s[38:39], v[40:41], v[110:111]
	v_mul_f64 v[112:113], v[92:93], s[12:13]
	v_add_f64 v[20:21], v[2:3], v[20:21]
	v_fma_f64 v[22:23], s[24:25], v[38:39], v[112:113]
	v_mul_f64 v[114:115], v[88:89], s[18:19]
	v_add_f64 v[14:15], v[14:15], v[12:13]
	v_fma_f64 v[12:13], s[18:19], v[84:85], v[122:123]
	v_add_f64 v[20:21], v[22:23], v[20:21]
	v_fma_f64 v[22:23], s[20:21], v[42:43], v[114:115]
	v_mul_f64 v[116:117], v[86:87], s[6:7]
	v_add_f64 v[12:13], v[12:13], v[118:119]
	v_add_f64 v[20:21], v[22:23], v[20:21]
	v_fma_f64 v[22:23], s[26:27], v[76:77], v[116:117]
	v_mul_f64 v[118:119], v[90:91], s[34:35]
	v_add_f64 v[20:21], v[22:23], v[20:21]
	v_fma_f64 v[22:23], s[28:29], v[74:75], v[118:119]
	v_mul_f64 v[120:121], v[100:101], s[16:17]
	v_fmac_f64_e32 v[110:111], s[34:35], v[40:41]
	v_add_f64 v[22:23], v[0:1], v[22:23]
	v_fma_f64 v[122:123], s[12:13], v[78:79], v[120:121]
	v_fmac_f64_e32 v[112:113], s[16:17], v[38:39]
	v_add_f64 v[110:111], v[2:3], v[110:111]
	v_add_f64 v[22:23], v[122:123], v[22:23]
	v_mul_f64 v[122:123], v[98:99], s[36:37]
	v_add_f64 v[110:111], v[112:113], v[110:111]
	v_fmac_f64_e32 v[114:115], s[36:37], v[42:43]
	v_fma_f64 v[124:125], s[18:19], v[80:81], v[122:123]
	v_add_f64 v[110:111], v[114:115], v[110:111]
	v_fma_f64 v[114:115], v[74:75], s[28:29], -v[118:119]
	v_add_f64 v[22:23], v[124:125], v[22:23]
	v_mul_f64 v[124:125], v[102:103], s[10:11]
	v_fma_f64 v[112:113], v[78:79], s[12:13], -v[120:121]
	v_add_f64 v[114:115], v[0:1], v[114:115]
	v_fma_f64 v[126:127], s[6:7], v[82:83], v[124:125]
	v_mul_f64 v[128:129], v[104:105], s[14:15]
	v_fmac_f64_e32 v[116:117], s[10:11], v[76:77]
	v_add_f64 v[112:113], v[112:113], v[114:115]
	v_fma_f64 v[114:115], v[80:81], s[18:19], -v[122:123]
	v_add_f64 v[126:127], v[126:127], v[22:23]
	v_fma_f64 v[22:23], s[22:23], v[96:97], v[128:129]
	;; [unrolled: 50-line block ×3, first 2 shown]
	v_mul_f64 v[138:139], v[106:107], s[26:27]
	v_add_f64 v[118:119], v[124:125], v[118:119]
	v_add_f64 v[120:121], v[122:123], v[120:121]
	v_fma_f64 v[122:123], v[82:83], s[28:29], -v[132:133]
	v_fmac_f64_e32 v[136:137], s[26:27], v[96:97]
	v_add_f64 v[122:123], v[122:123], v[120:121]
	v_add_f64 v[120:121], v[136:137], v[118:119]
	v_fma_f64 v[118:119], v[84:85], s[6:7], -v[138:139]
	v_mul_f64 v[94:95], v[94:95], s[6:7]
	v_add_f64 v[118:119], v[118:119], v[122:123]
	v_mul_f64 v[92:93], v[92:93], s[18:19]
	v_fma_f64 v[122:123], s[26:27], v[40:41], v[94:95]
	v_add_f64 v[122:123], v[2:3], v[122:123]
	v_fma_f64 v[124:125], s[36:37], v[38:39], v[92:93]
	v_add_f64 v[122:123], v[124:125], v[122:123]
	v_mul_f64 v[124:125], v[88:89], s[28:29]
	v_fma_f64 v[88:89], s[38:39], v[42:43], v[124:125]
	v_add_f64 v[88:89], v[88:89], v[122:123]
	v_mul_f64 v[122:123], v[86:87], s[14:15]
	v_fma_f64 v[86:87], s[22:23], v[76:77], v[122:123]
	v_mul_f64 v[90:91], v[90:91], s[10:11]
	v_add_f64 v[86:87], v[86:87], v[88:89]
	v_fma_f64 v[88:89], s[6:7], v[74:75], v[90:91]
	v_fmac_f64_e32 v[94:95], s[10:11], v[40:41]
	v_fma_f64 v[74:75], v[74:75], s[6:7], -v[90:91]
	v_add_f64 v[88:89], v[0:1], v[88:89]
	v_fmac_f64_e32 v[92:93], s[20:21], v[38:39]
	v_add_f64 v[38:39], v[2:3], v[94:95]
	v_add_f64 v[74:75], v[0:1], v[74:75]
	;; [unrolled: 1-line block ×10, first 2 shown]
	v_mul_f64 v[100:101], v[100:101], s[20:21]
	v_add_f64 v[2:3], v[2:3], v[56:57]
	v_add_f64 v[0:1], v[0:1], v[48:49]
	v_fma_f64 v[126:127], s[18:19], v[78:79], v[100:101]
	v_mul_f64 v[98:99], v[98:99], s[34:35]
	v_add_f64 v[2:3], v[2:3], v[50:51]
	v_add_f64 v[0:1], v[0:1], v[24:25]
	;; [unrolled: 1-line block ×3, first 2 shown]
	v_fma_f64 v[126:127], s[28:29], v[80:81], v[98:99]
	v_mul_f64 v[102:103], v[102:103], s[30:31]
	v_fma_f64 v[78:79], v[78:79], s[18:19], -v[100:101]
	v_add_f64 v[2:3], v[2:3], v[46:47]
	v_add_f64 v[0:1], v[0:1], v[26:27]
	v_lshrrev_b32_e32 v24, 4, v52
	v_add_f64 v[88:89], v[126:127], v[88:89]
	v_fma_f64 v[126:127], s[14:15], v[82:83], v[102:103]
	v_mul_f64 v[104:105], v[104:105], s[12:13]
	v_fmac_f64_e32 v[122:123], s[30:31], v[76:77]
	v_fmac_f64_e32 v[124:125], s[34:35], v[42:43]
	v_add_f64 v[38:39], v[92:93], v[38:39]
	v_fma_f64 v[76:77], v[80:81], s[28:29], -v[98:99]
	v_add_f64 v[74:75], v[78:79], v[74:75]
	v_add_f64 v[2:3], v[2:3], v[60:61]
	v_add_f64 v[0:1], v[0:1], v[28:29]
	v_mul_u32_u24_e32 v24, 0xb0, v24
	v_add_f64 v[126:127], v[126:127], v[88:89]
	v_fma_f64 v[88:89], s[16:17], v[96:97], v[104:105]
	v_mul_f64 v[106:107], v[106:107], s[24:25]
	v_add_f64 v[38:39], v[124:125], v[38:39]
	v_fma_f64 v[40:41], v[82:83], s[14:15], -v[102:103]
	v_add_f64 v[74:75], v[76:77], v[74:75]
	v_add_f64 v[2:3], v[2:3], v[64:65]
	;; [unrolled: 1-line block ×3, first 2 shown]
	v_or_b32_e32 v24, v24, v53
	v_add_f64 v[116:117], v[116:117], v[114:115]
	v_fma_f64 v[114:115], s[6:7], v[84:85], v[138:139]
	v_add_f64 v[88:89], v[88:89], v[86:87]
	v_fma_f64 v[86:87], s[12:13], v[84:85], v[106:107]
	v_fmac_f64_e32 v[104:105], s[24:25], v[96:97]
	v_add_f64 v[38:39], v[122:123], v[38:39]
	v_fma_f64 v[42:43], v[84:85], s[12:13], -v[106:107]
	v_add_f64 v[74:75], v[40:41], v[74:75]
	v_add_f64 v[2:3], v[2:3], v[66:67]
	;; [unrolled: 1-line block ×3, first 2 shown]
	v_lshl_add_u32 v24, v24, 4, 0
	v_add_f64 v[114:115], v[114:115], v[134:135]
	v_add_f64 v[86:87], v[86:87], v[126:127]
	;; [unrolled: 1-line block ×4, first 2 shown]
	ds_write_b128 v24, v[0:3]
	ds_write_b128 v24, v[38:41] offset:256
	ds_write_b128 v24, v[118:121] offset:512
	ds_write_b128 v24, v[110:113] offset:768
	ds_write_b128 v24, v[16:19] offset:1024
	ds_write_b128 v24, v[8:11] offset:1280
	ds_write_b128 v24, v[4:7] offset:1536
	ds_write_b128 v24, v[12:15] offset:1792
	ds_write_b128 v24, v[20:23] offset:2048
	ds_write_b128 v24, v[114:117] offset:2304
	ds_write_b128 v24, v[86:89] offset:2560
.LBB0_21:
	s_or_b64 exec, exec, s[4:5]
	v_mul_u32_u24_e32 v0, 5, v52
	v_lshlrev_b32_e32 v20, 4, v0
	s_waitcnt lgkmcnt(0)
	s_barrier
	global_load_dwordx4 v[0:3], v20, s[8:9] offset:2784
	global_load_dwordx4 v[4:7], v20, s[8:9] offset:2800
	;; [unrolled: 1-line block ×5, first 2 shown]
	ds_read_b128 v[20:23], v108
	ds_read_b128 v[24:27], v108 offset:2816
	ds_read_b128 v[28:31], v108 offset:5632
	;; [unrolled: 1-line block ×5, first 2 shown]
	s_mov_b32 s4, 0xe8584caa
	s_mov_b32 s5, 0x3febb67a
	s_mov_b32 s7, 0xbfebb67a
	s_mov_b32 s6, s4
	s_waitcnt lgkmcnt(0)
	s_barrier
	s_waitcnt vmcnt(4)
	v_mul_f64 v[44:45], v[26:27], v[2:3]
	v_mul_f64 v[46:47], v[24:25], v[2:3]
	s_waitcnt vmcnt(3)
	v_mul_f64 v[2:3], v[30:31], v[6:7]
	s_waitcnt vmcnt(2)
	v_mul_f64 v[48:49], v[34:35], v[10:11]
	v_mul_f64 v[10:11], v[32:33], v[10:11]
	s_waitcnt vmcnt(0)
	v_mul_f64 v[56:57], v[42:43], v[18:19]
	v_mul_f64 v[18:19], v[40:41], v[18:19]
	;; [unrolled: 1-line block ×4, first 2 shown]
	v_fma_f64 v[24:25], v[24:25], v[0:1], -v[44:45]
	v_fmac_f64_e32 v[46:47], v[26:27], v[0:1]
	v_fma_f64 v[0:1], v[28:29], v[4:5], -v[2:3]
	v_fma_f64 v[2:3], v[32:33], v[8:9], -v[48:49]
	v_fmac_f64_e32 v[10:11], v[34:35], v[8:9]
	v_fma_f64 v[8:9], v[40:41], v[16:17], -v[56:57]
	v_fmac_f64_e32 v[18:19], v[42:43], v[16:17]
	v_mul_f64 v[14:15], v[36:37], v[14:15]
	v_fmac_f64_e32 v[6:7], v[30:31], v[4:5]
	v_fma_f64 v[4:5], v[36:37], v[12:13], -v[50:51]
	v_add_f64 v[32:33], v[2:3], v[8:9]
	v_add_f64 v[34:35], v[10:11], -v[18:19]
	v_add_f64 v[36:37], v[46:47], v[10:11]
	v_add_f64 v[10:11], v[10:11], v[18:19]
	v_fmac_f64_e32 v[14:15], v[38:39], v[12:13]
	v_add_f64 v[12:13], v[20:21], v[0:1]
	v_add_f64 v[16:17], v[0:1], v[4:5]
	;; [unrolled: 1-line block ×4, first 2 shown]
	v_add_f64 v[2:3], v[2:3], -v[8:9]
	v_fmac_f64_e32 v[24:25], -0.5, v[32:33]
	v_fmac_f64_e32 v[46:47], -0.5, v[10:11]
	v_add_f64 v[26:27], v[6:7], -v[14:15]
	v_add_f64 v[6:7], v[6:7], v[14:15]
	v_add_f64 v[0:1], v[0:1], -v[4:5]
	v_add_f64 v[4:5], v[12:13], v[4:5]
	v_fmac_f64_e32 v[20:21], -0.5, v[16:17]
	v_add_f64 v[12:13], v[28:29], v[14:15]
	v_fma_f64 v[10:11], s[4:5], v[34:35], v[24:25]
	v_fmac_f64_e32 v[24:25], s[6:7], v[34:35]
	v_fma_f64 v[14:15], s[6:7], v[2:3], v[46:47]
	v_fmac_f64_e32 v[46:47], s[4:5], v[2:3]
	v_fmac_f64_e32 v[22:23], -0.5, v[6:7]
	v_add_f64 v[6:7], v[30:31], v[8:9]
	v_add_f64 v[8:9], v[36:37], v[18:19]
	v_fma_f64 v[16:17], s[4:5], v[26:27], v[20:21]
	v_fmac_f64_e32 v[20:21], s[6:7], v[26:27]
	v_mul_f64 v[26:27], v[14:15], s[4:5]
	v_mul_f64 v[28:29], v[24:25], -0.5
	v_mul_f64 v[30:31], v[10:11], s[6:7]
	v_mul_f64 v[32:33], v[46:47], -0.5
	v_fma_f64 v[18:19], s[6:7], v[0:1], v[22:23]
	v_fmac_f64_e32 v[22:23], s[4:5], v[0:1]
	v_add_f64 v[0:1], v[4:5], v[6:7]
	v_add_f64 v[2:3], v[12:13], v[8:9]
	v_fmac_f64_e32 v[26:27], 0.5, v[10:11]
	v_fmac_f64_e32 v[28:29], s[4:5], v[46:47]
	v_fmac_f64_e32 v[30:31], 0.5, v[14:15]
	v_fmac_f64_e32 v[32:33], s[6:7], v[24:25]
	v_add_f64 v[4:5], v[4:5], -v[6:7]
	v_add_f64 v[6:7], v[12:13], -v[8:9]
	v_add_f64 v[8:9], v[16:17], v[26:27]
	v_add_f64 v[12:13], v[20:21], v[28:29]
	;; [unrolled: 1-line block ×4, first 2 shown]
	v_add_f64 v[16:17], v[16:17], -v[26:27]
	v_add_f64 v[20:21], v[20:21], -v[28:29]
	;; [unrolled: 1-line block ×4, first 2 shown]
	ds_write_b128 v108, v[0:3]
	ds_write_b128 v108, v[8:11] offset:2816
	ds_write_b128 v108, v[12:15] offset:5632
	;; [unrolled: 1-line block ×5, first 2 shown]
	s_waitcnt lgkmcnt(0)
	s_barrier
	s_and_saveexec_b64 s[4:5], s[0:1]
	s_cbranch_execz .LBB0_23
; %bb.22:
	v_lshl_add_u32 v10, v52, 4, 0
	ds_read_b128 v[0:3], v10
	v_mov_b32_e32 v53, 0
	v_mov_b32_e32 v4, s3
	v_add_co_u32_e32 v11, vcc, s2, v54
	v_addc_co_u32_e32 v12, vcc, v4, v55, vcc
	v_lshlrev_b64 v[4:5], 4, v[52:53]
	v_add_co_u32_e32 v8, vcc, v11, v4
	v_addc_co_u32_e32 v9, vcc, v12, v5, vcc
	ds_read_b128 v[4:7], v10 offset:2816
	s_waitcnt lgkmcnt(1)
	global_store_dwordx4 v[8:9], v[0:3], off
	s_nop 0
	v_add_u32_e32 v0, 0xb0, v52
	v_mov_b32_e32 v1, v53
	v_lshlrev_b64 v[0:1], 4, v[0:1]
	v_add_co_u32_e32 v0, vcc, v11, v0
	v_addc_co_u32_e32 v1, vcc, v12, v1, vcc
	s_waitcnt lgkmcnt(0)
	global_store_dwordx4 v[0:1], v[4:7], off
	ds_read_b128 v[0:3], v10 offset:5632
	v_add_u32_e32 v4, 0x160, v52
	v_mov_b32_e32 v5, v53
	v_lshlrev_b64 v[4:5], 4, v[4:5]
	v_add_co_u32_e32 v8, vcc, v11, v4
	v_addc_co_u32_e32 v9, vcc, v12, v5, vcc
	ds_read_b128 v[4:7], v10 offset:8448
	s_waitcnt lgkmcnt(1)
	global_store_dwordx4 v[8:9], v[0:3], off
	s_nop 0
	v_add_u32_e32 v0, 0x210, v52
	v_mov_b32_e32 v1, v53
	v_lshlrev_b64 v[0:1], 4, v[0:1]
	v_add_co_u32_e32 v0, vcc, v11, v0
	v_addc_co_u32_e32 v1, vcc, v12, v1, vcc
	s_waitcnt lgkmcnt(0)
	global_store_dwordx4 v[0:1], v[4:7], off
	ds_read_b128 v[0:3], v10 offset:11264
	v_add_u32_e32 v4, 0x2c0, v52
	v_mov_b32_e32 v5, v53
	v_lshlrev_b64 v[4:5], 4, v[4:5]
	v_add_co_u32_e32 v8, vcc, v11, v4
	v_addc_co_u32_e32 v9, vcc, v12, v5, vcc
	ds_read_b128 v[4:7], v10 offset:14080
	v_add_u32_e32 v52, 0x370, v52
	s_waitcnt lgkmcnt(1)
	global_store_dwordx4 v[8:9], v[0:3], off
	s_nop 0
	v_lshlrev_b64 v[0:1], 4, v[52:53]
	v_add_co_u32_e32 v0, vcc, v11, v0
	v_addc_co_u32_e32 v1, vcc, v12, v1, vcc
	s_waitcnt lgkmcnt(0)
	global_store_dwordx4 v[0:1], v[4:7], off
.LBB0_23:
	s_endpgm
	.section	.rodata,"a",@progbits
	.p2align	6, 0x0
	.amdhsa_kernel fft_rtc_fwd_len1056_factors_2_2_2_2_11_6_wgs_176_tpt_176_halfLds_dp_ip_CI_unitstride_sbrr_C2R_dirReg
		.amdhsa_group_segment_fixed_size 0
		.amdhsa_private_segment_fixed_size 0
		.amdhsa_kernarg_size 88
		.amdhsa_user_sgpr_count 6
		.amdhsa_user_sgpr_private_segment_buffer 1
		.amdhsa_user_sgpr_dispatch_ptr 0
		.amdhsa_user_sgpr_queue_ptr 0
		.amdhsa_user_sgpr_kernarg_segment_ptr 1
		.amdhsa_user_sgpr_dispatch_id 0
		.amdhsa_user_sgpr_flat_scratch_init 0
		.amdhsa_user_sgpr_kernarg_preload_length 0
		.amdhsa_user_sgpr_kernarg_preload_offset 0
		.amdhsa_user_sgpr_private_segment_size 0
		.amdhsa_uses_dynamic_stack 0
		.amdhsa_system_sgpr_private_segment_wavefront_offset 0
		.amdhsa_system_sgpr_workgroup_id_x 1
		.amdhsa_system_sgpr_workgroup_id_y 0
		.amdhsa_system_sgpr_workgroup_id_z 0
		.amdhsa_system_sgpr_workgroup_info 0
		.amdhsa_system_vgpr_workitem_id 0
		.amdhsa_next_free_vgpr 140
		.amdhsa_next_free_sgpr 40
		.amdhsa_accum_offset 140
		.amdhsa_reserve_vcc 1
		.amdhsa_reserve_flat_scratch 0
		.amdhsa_float_round_mode_32 0
		.amdhsa_float_round_mode_16_64 0
		.amdhsa_float_denorm_mode_32 3
		.amdhsa_float_denorm_mode_16_64 3
		.amdhsa_dx10_clamp 1
		.amdhsa_ieee_mode 1
		.amdhsa_fp16_overflow 0
		.amdhsa_tg_split 0
		.amdhsa_exception_fp_ieee_invalid_op 0
		.amdhsa_exception_fp_denorm_src 0
		.amdhsa_exception_fp_ieee_div_zero 0
		.amdhsa_exception_fp_ieee_overflow 0
		.amdhsa_exception_fp_ieee_underflow 0
		.amdhsa_exception_fp_ieee_inexact 0
		.amdhsa_exception_int_div_zero 0
	.end_amdhsa_kernel
	.text
.Lfunc_end0:
	.size	fft_rtc_fwd_len1056_factors_2_2_2_2_11_6_wgs_176_tpt_176_halfLds_dp_ip_CI_unitstride_sbrr_C2R_dirReg, .Lfunc_end0-fft_rtc_fwd_len1056_factors_2_2_2_2_11_6_wgs_176_tpt_176_halfLds_dp_ip_CI_unitstride_sbrr_C2R_dirReg
                                        ; -- End function
	.section	.AMDGPU.csdata,"",@progbits
; Kernel info:
; codeLenInByte = 7456
; NumSgprs: 44
; NumVgprs: 140
; NumAgprs: 0
; TotalNumVgprs: 140
; ScratchSize: 0
; MemoryBound: 0
; FloatMode: 240
; IeeeMode: 1
; LDSByteSize: 0 bytes/workgroup (compile time only)
; SGPRBlocks: 5
; VGPRBlocks: 17
; NumSGPRsForWavesPerEU: 44
; NumVGPRsForWavesPerEU: 140
; AccumOffset: 140
; Occupancy: 3
; WaveLimiterHint : 1
; COMPUTE_PGM_RSRC2:SCRATCH_EN: 0
; COMPUTE_PGM_RSRC2:USER_SGPR: 6
; COMPUTE_PGM_RSRC2:TRAP_HANDLER: 0
; COMPUTE_PGM_RSRC2:TGID_X_EN: 1
; COMPUTE_PGM_RSRC2:TGID_Y_EN: 0
; COMPUTE_PGM_RSRC2:TGID_Z_EN: 0
; COMPUTE_PGM_RSRC2:TIDIG_COMP_CNT: 0
; COMPUTE_PGM_RSRC3_GFX90A:ACCUM_OFFSET: 34
; COMPUTE_PGM_RSRC3_GFX90A:TG_SPLIT: 0
	.text
	.p2alignl 6, 3212836864
	.fill 256, 4, 3212836864
	.type	__hip_cuid_5d15b5f2d3387fbe,@object ; @__hip_cuid_5d15b5f2d3387fbe
	.section	.bss,"aw",@nobits
	.globl	__hip_cuid_5d15b5f2d3387fbe
__hip_cuid_5d15b5f2d3387fbe:
	.byte	0                               ; 0x0
	.size	__hip_cuid_5d15b5f2d3387fbe, 1

	.ident	"AMD clang version 19.0.0git (https://github.com/RadeonOpenCompute/llvm-project roc-6.4.0 25133 c7fe45cf4b819c5991fe208aaa96edf142730f1d)"
	.section	".note.GNU-stack","",@progbits
	.addrsig
	.addrsig_sym __hip_cuid_5d15b5f2d3387fbe
	.amdgpu_metadata
---
amdhsa.kernels:
  - .agpr_count:     0
    .args:
      - .actual_access:  read_only
        .address_space:  global
        .offset:         0
        .size:           8
        .value_kind:     global_buffer
      - .offset:         8
        .size:           8
        .value_kind:     by_value
      - .actual_access:  read_only
        .address_space:  global
        .offset:         16
        .size:           8
        .value_kind:     global_buffer
      - .actual_access:  read_only
        .address_space:  global
        .offset:         24
        .size:           8
        .value_kind:     global_buffer
      - .offset:         32
        .size:           8
        .value_kind:     by_value
      - .actual_access:  read_only
        .address_space:  global
        .offset:         40
        .size:           8
        .value_kind:     global_buffer
      - .actual_access:  read_only
        .address_space:  global
        .offset:         48
        .size:           8
        .value_kind:     global_buffer
      - .offset:         56
        .size:           4
        .value_kind:     by_value
      - .actual_access:  read_only
        .address_space:  global
        .offset:         64
        .size:           8
        .value_kind:     global_buffer
      - .actual_access:  read_only
        .address_space:  global
        .offset:         72
        .size:           8
        .value_kind:     global_buffer
      - .address_space:  global
        .offset:         80
        .size:           8
        .value_kind:     global_buffer
    .group_segment_fixed_size: 0
    .kernarg_segment_align: 8
    .kernarg_segment_size: 88
    .language:       OpenCL C
    .language_version:
      - 2
      - 0
    .max_flat_workgroup_size: 176
    .name:           fft_rtc_fwd_len1056_factors_2_2_2_2_11_6_wgs_176_tpt_176_halfLds_dp_ip_CI_unitstride_sbrr_C2R_dirReg
    .private_segment_fixed_size: 0
    .sgpr_count:     44
    .sgpr_spill_count: 0
    .symbol:         fft_rtc_fwd_len1056_factors_2_2_2_2_11_6_wgs_176_tpt_176_halfLds_dp_ip_CI_unitstride_sbrr_C2R_dirReg.kd
    .uniform_work_group_size: 1
    .uses_dynamic_stack: false
    .vgpr_count:     140
    .vgpr_spill_count: 0
    .wavefront_size: 64
amdhsa.target:   amdgcn-amd-amdhsa--gfx90a
amdhsa.version:
  - 1
  - 2
...

	.end_amdgpu_metadata
